;; amdgpu-corpus repo=ROCm/rocFFT kind=compiled arch=gfx1201 opt=O3
	.text
	.amdgcn_target "amdgcn-amd-amdhsa--gfx1201"
	.amdhsa_code_object_version 6
	.protected	fft_rtc_fwd_len660_factors_11_6_10_wgs_110_tpt_110_halfLds_dp_ip_CI_unitstride_sbrr_C2R_dirReg ; -- Begin function fft_rtc_fwd_len660_factors_11_6_10_wgs_110_tpt_110_halfLds_dp_ip_CI_unitstride_sbrr_C2R_dirReg
	.globl	fft_rtc_fwd_len660_factors_11_6_10_wgs_110_tpt_110_halfLds_dp_ip_CI_unitstride_sbrr_C2R_dirReg
	.p2align	8
	.type	fft_rtc_fwd_len660_factors_11_6_10_wgs_110_tpt_110_halfLds_dp_ip_CI_unitstride_sbrr_C2R_dirReg,@function
fft_rtc_fwd_len660_factors_11_6_10_wgs_110_tpt_110_halfLds_dp_ip_CI_unitstride_sbrr_C2R_dirReg: ; @fft_rtc_fwd_len660_factors_11_6_10_wgs_110_tpt_110_halfLds_dp_ip_CI_unitstride_sbrr_C2R_dirReg
; %bb.0:
	s_clause 0x2
	s_load_b128 s[4:7], s[0:1], 0x0
	s_load_b64 s[8:9], s[0:1], 0x50
	s_load_b64 s[10:11], s[0:1], 0x18
	v_mul_u32_u24_e32 v1, 0x254, v0
	v_mov_b32_e32 v3, 0
	s_delay_alu instid0(VALU_DEP_2) | instskip(NEXT) | instid1(VALU_DEP_1)
	v_lshrrev_b32_e32 v1, 16, v1
	v_add_nc_u32_e32 v5, ttmp9, v1
	v_mov_b32_e32 v1, 0
	v_mov_b32_e32 v2, 0
	;; [unrolled: 1-line block ×3, first 2 shown]
	s_wait_kmcnt 0x0
	v_cmp_lt_u64_e64 s2, s[6:7], 2
	s_delay_alu instid0(VALU_DEP_1)
	s_and_b32 vcc_lo, exec_lo, s2
	s_cbranch_vccnz .LBB0_8
; %bb.1:
	s_load_b64 s[2:3], s[0:1], 0x10
	v_mov_b32_e32 v1, 0
	v_mov_b32_e32 v2, 0
	s_add_nc_u64 s[12:13], s[10:11], 8
	s_mov_b64 s[14:15], 1
	s_wait_kmcnt 0x0
	s_add_nc_u64 s[16:17], s[2:3], 8
	s_mov_b32 s3, 0
.LBB0_2:                                ; =>This Inner Loop Header: Depth=1
	s_load_b64 s[18:19], s[16:17], 0x0
                                        ; implicit-def: $vgpr7_vgpr8
	s_mov_b32 s2, exec_lo
	s_wait_kmcnt 0x0
	v_or_b32_e32 v4, s19, v6
	s_delay_alu instid0(VALU_DEP_1)
	v_cmpx_ne_u64_e32 0, v[3:4]
	s_wait_alu 0xfffe
	s_xor_b32 s20, exec_lo, s2
	s_cbranch_execz .LBB0_4
; %bb.3:                                ;   in Loop: Header=BB0_2 Depth=1
	s_cvt_f32_u32 s2, s18
	s_cvt_f32_u32 s21, s19
	s_sub_nc_u64 s[24:25], 0, s[18:19]
	s_wait_alu 0xfffe
	s_delay_alu instid0(SALU_CYCLE_1) | instskip(SKIP_1) | instid1(SALU_CYCLE_2)
	s_fmamk_f32 s2, s21, 0x4f800000, s2
	s_wait_alu 0xfffe
	v_s_rcp_f32 s2, s2
	s_delay_alu instid0(TRANS32_DEP_1) | instskip(SKIP_1) | instid1(SALU_CYCLE_2)
	s_mul_f32 s2, s2, 0x5f7ffffc
	s_wait_alu 0xfffe
	s_mul_f32 s21, s2, 0x2f800000
	s_wait_alu 0xfffe
	s_delay_alu instid0(SALU_CYCLE_2) | instskip(SKIP_1) | instid1(SALU_CYCLE_2)
	s_trunc_f32 s21, s21
	s_wait_alu 0xfffe
	s_fmamk_f32 s2, s21, 0xcf800000, s2
	s_cvt_u32_f32 s23, s21
	s_wait_alu 0xfffe
	s_delay_alu instid0(SALU_CYCLE_1) | instskip(SKIP_1) | instid1(SALU_CYCLE_2)
	s_cvt_u32_f32 s22, s2
	s_wait_alu 0xfffe
	s_mul_u64 s[26:27], s[24:25], s[22:23]
	s_wait_alu 0xfffe
	s_mul_hi_u32 s29, s22, s27
	s_mul_i32 s28, s22, s27
	s_mul_hi_u32 s2, s22, s26
	s_mul_i32 s30, s23, s26
	s_wait_alu 0xfffe
	s_add_nc_u64 s[28:29], s[2:3], s[28:29]
	s_mul_hi_u32 s21, s23, s26
	s_mul_hi_u32 s31, s23, s27
	s_add_co_u32 s2, s28, s30
	s_wait_alu 0xfffe
	s_add_co_ci_u32 s2, s29, s21
	s_mul_i32 s26, s23, s27
	s_add_co_ci_u32 s27, s31, 0
	s_wait_alu 0xfffe
	s_add_nc_u64 s[26:27], s[2:3], s[26:27]
	s_wait_alu 0xfffe
	v_add_co_u32 v4, s2, s22, s26
	s_delay_alu instid0(VALU_DEP_1) | instskip(SKIP_1) | instid1(VALU_DEP_1)
	s_cmp_lg_u32 s2, 0
	s_add_co_ci_u32 s23, s23, s27
	v_readfirstlane_b32 s22, v4
	s_wait_alu 0xfffe
	s_delay_alu instid0(VALU_DEP_1)
	s_mul_u64 s[24:25], s[24:25], s[22:23]
	s_wait_alu 0xfffe
	s_mul_hi_u32 s27, s22, s25
	s_mul_i32 s26, s22, s25
	s_mul_hi_u32 s2, s22, s24
	s_mul_i32 s28, s23, s24
	s_wait_alu 0xfffe
	s_add_nc_u64 s[26:27], s[2:3], s[26:27]
	s_mul_hi_u32 s21, s23, s24
	s_mul_hi_u32 s22, s23, s25
	s_wait_alu 0xfffe
	s_add_co_u32 s2, s26, s28
	s_add_co_ci_u32 s2, s27, s21
	s_mul_i32 s24, s23, s25
	s_add_co_ci_u32 s25, s22, 0
	s_wait_alu 0xfffe
	s_add_nc_u64 s[24:25], s[2:3], s[24:25]
	s_wait_alu 0xfffe
	v_add_co_u32 v4, s2, v4, s24
	s_delay_alu instid0(VALU_DEP_1) | instskip(SKIP_1) | instid1(VALU_DEP_1)
	s_cmp_lg_u32 s2, 0
	s_add_co_ci_u32 s2, s23, s25
	v_mul_hi_u32 v13, v5, v4
	s_wait_alu 0xfffe
	v_mad_co_u64_u32 v[7:8], null, v5, s2, 0
	v_mad_co_u64_u32 v[9:10], null, v6, v4, 0
	;; [unrolled: 1-line block ×3, first 2 shown]
	s_delay_alu instid0(VALU_DEP_3) | instskip(SKIP_1) | instid1(VALU_DEP_4)
	v_add_co_u32 v4, vcc_lo, v13, v7
	s_wait_alu 0xfffd
	v_add_co_ci_u32_e32 v7, vcc_lo, 0, v8, vcc_lo
	s_delay_alu instid0(VALU_DEP_2) | instskip(SKIP_1) | instid1(VALU_DEP_2)
	v_add_co_u32 v4, vcc_lo, v4, v9
	s_wait_alu 0xfffd
	v_add_co_ci_u32_e32 v4, vcc_lo, v7, v10, vcc_lo
	s_wait_alu 0xfffd
	v_add_co_ci_u32_e32 v7, vcc_lo, 0, v12, vcc_lo
	s_delay_alu instid0(VALU_DEP_2) | instskip(SKIP_1) | instid1(VALU_DEP_2)
	v_add_co_u32 v4, vcc_lo, v4, v11
	s_wait_alu 0xfffd
	v_add_co_ci_u32_e32 v9, vcc_lo, 0, v7, vcc_lo
	s_delay_alu instid0(VALU_DEP_2) | instskip(SKIP_1) | instid1(VALU_DEP_3)
	v_mul_lo_u32 v10, s19, v4
	v_mad_co_u64_u32 v[7:8], null, s18, v4, 0
	v_mul_lo_u32 v11, s18, v9
	s_delay_alu instid0(VALU_DEP_2) | instskip(NEXT) | instid1(VALU_DEP_2)
	v_sub_co_u32 v7, vcc_lo, v5, v7
	v_add3_u32 v8, v8, v11, v10
	s_delay_alu instid0(VALU_DEP_1) | instskip(SKIP_1) | instid1(VALU_DEP_1)
	v_sub_nc_u32_e32 v10, v6, v8
	s_wait_alu 0xfffd
	v_subrev_co_ci_u32_e64 v10, s2, s19, v10, vcc_lo
	v_add_co_u32 v11, s2, v4, 2
	s_wait_alu 0xf1ff
	v_add_co_ci_u32_e64 v12, s2, 0, v9, s2
	v_sub_co_u32 v13, s2, v7, s18
	v_sub_co_ci_u32_e32 v8, vcc_lo, v6, v8, vcc_lo
	s_wait_alu 0xf1ff
	v_subrev_co_ci_u32_e64 v10, s2, 0, v10, s2
	s_delay_alu instid0(VALU_DEP_3) | instskip(NEXT) | instid1(VALU_DEP_3)
	v_cmp_le_u32_e32 vcc_lo, s18, v13
	v_cmp_eq_u32_e64 s2, s19, v8
	s_wait_alu 0xfffd
	v_cndmask_b32_e64 v13, 0, -1, vcc_lo
	v_cmp_le_u32_e32 vcc_lo, s19, v10
	s_wait_alu 0xfffd
	v_cndmask_b32_e64 v14, 0, -1, vcc_lo
	v_cmp_le_u32_e32 vcc_lo, s18, v7
	;; [unrolled: 3-line block ×3, first 2 shown]
	s_wait_alu 0xfffd
	v_cndmask_b32_e64 v15, 0, -1, vcc_lo
	v_cmp_eq_u32_e32 vcc_lo, s19, v10
	s_wait_alu 0xf1ff
	s_delay_alu instid0(VALU_DEP_2)
	v_cndmask_b32_e64 v7, v15, v7, s2
	s_wait_alu 0xfffd
	v_cndmask_b32_e32 v10, v14, v13, vcc_lo
	v_add_co_u32 v13, vcc_lo, v4, 1
	s_wait_alu 0xfffd
	v_add_co_ci_u32_e32 v14, vcc_lo, 0, v9, vcc_lo
	s_delay_alu instid0(VALU_DEP_3) | instskip(SKIP_2) | instid1(VALU_DEP_3)
	v_cmp_ne_u32_e32 vcc_lo, 0, v10
	s_wait_alu 0xfffd
	v_cndmask_b32_e32 v10, v13, v11, vcc_lo
	v_cndmask_b32_e32 v8, v14, v12, vcc_lo
	v_cmp_ne_u32_e32 vcc_lo, 0, v7
	s_wait_alu 0xfffd
	s_delay_alu instid0(VALU_DEP_2)
	v_dual_cndmask_b32 v7, v4, v10 :: v_dual_cndmask_b32 v8, v9, v8
.LBB0_4:                                ;   in Loop: Header=BB0_2 Depth=1
	s_wait_alu 0xfffe
	s_and_not1_saveexec_b32 s2, s20
	s_cbranch_execz .LBB0_6
; %bb.5:                                ;   in Loop: Header=BB0_2 Depth=1
	v_cvt_f32_u32_e32 v4, s18
	s_sub_co_i32 s20, 0, s18
	s_delay_alu instid0(VALU_DEP_1) | instskip(NEXT) | instid1(TRANS32_DEP_1)
	v_rcp_iflag_f32_e32 v4, v4
	v_mul_f32_e32 v4, 0x4f7ffffe, v4
	s_delay_alu instid0(VALU_DEP_1) | instskip(SKIP_1) | instid1(VALU_DEP_1)
	v_cvt_u32_f32_e32 v4, v4
	s_wait_alu 0xfffe
	v_mul_lo_u32 v7, s20, v4
	s_delay_alu instid0(VALU_DEP_1) | instskip(NEXT) | instid1(VALU_DEP_1)
	v_mul_hi_u32 v7, v4, v7
	v_add_nc_u32_e32 v4, v4, v7
	s_delay_alu instid0(VALU_DEP_1) | instskip(NEXT) | instid1(VALU_DEP_1)
	v_mul_hi_u32 v4, v5, v4
	v_mul_lo_u32 v7, v4, s18
	v_add_nc_u32_e32 v8, 1, v4
	s_delay_alu instid0(VALU_DEP_2) | instskip(NEXT) | instid1(VALU_DEP_1)
	v_sub_nc_u32_e32 v7, v5, v7
	v_subrev_nc_u32_e32 v9, s18, v7
	v_cmp_le_u32_e32 vcc_lo, s18, v7
	s_wait_alu 0xfffd
	s_delay_alu instid0(VALU_DEP_2) | instskip(NEXT) | instid1(VALU_DEP_1)
	v_dual_cndmask_b32 v7, v7, v9 :: v_dual_cndmask_b32 v4, v4, v8
	v_cmp_le_u32_e32 vcc_lo, s18, v7
	s_delay_alu instid0(VALU_DEP_2) | instskip(SKIP_1) | instid1(VALU_DEP_1)
	v_add_nc_u32_e32 v8, 1, v4
	s_wait_alu 0xfffd
	v_dual_cndmask_b32 v7, v4, v8 :: v_dual_mov_b32 v8, v3
.LBB0_6:                                ;   in Loop: Header=BB0_2 Depth=1
	s_wait_alu 0xfffe
	s_or_b32 exec_lo, exec_lo, s2
	s_load_b64 s[20:21], s[12:13], 0x0
	s_delay_alu instid0(VALU_DEP_1)
	v_mul_lo_u32 v4, v8, s18
	v_mul_lo_u32 v11, v7, s19
	v_mad_co_u64_u32 v[9:10], null, v7, s18, 0
	s_add_nc_u64 s[14:15], s[14:15], 1
	s_add_nc_u64 s[12:13], s[12:13], 8
	s_wait_alu 0xfffe
	v_cmp_ge_u64_e64 s2, s[14:15], s[6:7]
	s_add_nc_u64 s[16:17], s[16:17], 8
	s_delay_alu instid0(VALU_DEP_2) | instskip(NEXT) | instid1(VALU_DEP_3)
	v_add3_u32 v4, v10, v11, v4
	v_sub_co_u32 v5, vcc_lo, v5, v9
	s_wait_alu 0xfffd
	s_delay_alu instid0(VALU_DEP_2) | instskip(SKIP_3) | instid1(VALU_DEP_2)
	v_sub_co_ci_u32_e32 v4, vcc_lo, v6, v4, vcc_lo
	s_and_b32 vcc_lo, exec_lo, s2
	s_wait_kmcnt 0x0
	v_mul_lo_u32 v6, s21, v5
	v_mul_lo_u32 v4, s20, v4
	v_mad_co_u64_u32 v[1:2], null, s20, v5, v[1:2]
	s_delay_alu instid0(VALU_DEP_1)
	v_add3_u32 v2, v6, v2, v4
	s_wait_alu 0xfffe
	s_cbranch_vccnz .LBB0_9
; %bb.7:                                ;   in Loop: Header=BB0_2 Depth=1
	v_dual_mov_b32 v5, v7 :: v_dual_mov_b32 v6, v8
	s_branch .LBB0_2
.LBB0_8:
	v_dual_mov_b32 v8, v6 :: v_dual_mov_b32 v7, v5
.LBB0_9:
	s_lshl_b64 s[2:3], s[6:7], 3
	v_mul_hi_u32 v5, 0x253c826, v0
	s_wait_alu 0xfffe
	s_add_nc_u64 s[2:3], s[10:11], s[2:3]
	s_load_b64 s[2:3], s[2:3], 0x0
	s_load_b64 s[0:1], s[0:1], 0x20
	s_wait_kmcnt 0x0
	v_mul_lo_u32 v3, s2, v8
	v_mul_lo_u32 v4, s3, v7
	v_mad_co_u64_u32 v[1:2], null, s2, v7, v[1:2]
	v_cmp_gt_u64_e32 vcc_lo, s[0:1], v[7:8]
	s_delay_alu instid0(VALU_DEP_2) | instskip(SKIP_1) | instid1(VALU_DEP_2)
	v_add3_u32 v2, v4, v2, v3
	v_mul_u32_u24_e32 v3, 0x6e, v5
	v_lshlrev_b64_e32 v[62:63], 4, v[1:2]
	s_delay_alu instid0(VALU_DEP_2)
	v_sub_nc_u32_e32 v60, v0, v3
	s_and_saveexec_b32 s1, vcc_lo
	s_cbranch_execz .LBB0_13
; %bb.10:
	v_mov_b32_e32 v61, 0
	s_delay_alu instid0(VALU_DEP_3) | instskip(SKIP_2) | instid1(VALU_DEP_3)
	v_add_co_u32 v0, s0, s8, v62
	s_wait_alu 0xf1ff
	v_add_co_ci_u32_e64 v1, s0, s9, v63, s0
	v_lshlrev_b64_e32 v[2:3], 4, v[60:61]
	v_lshl_add_u32 v26, v60, 4, 0
	s_mov_b32 s2, exec_lo
	s_delay_alu instid0(VALU_DEP_2) | instskip(SKIP_1) | instid1(VALU_DEP_3)
	v_add_co_u32 v22, s0, v0, v2
	s_wait_alu 0xf1ff
	v_add_co_ci_u32_e64 v23, s0, v1, v3, s0
	s_clause 0x5
	global_load_b128 v[2:5], v[22:23], off
	global_load_b128 v[6:9], v[22:23], off offset:1760
	global_load_b128 v[10:13], v[22:23], off offset:3520
	;; [unrolled: 1-line block ×5, first 2 shown]
	s_wait_loadcnt 0x5
	ds_store_b128 v26, v[2:5]
	s_wait_loadcnt 0x4
	ds_store_b128 v26, v[6:9] offset:1760
	s_wait_loadcnt 0x3
	ds_store_b128 v26, v[10:13] offset:3520
	;; [unrolled: 2-line block ×5, first 2 shown]
	v_cmpx_eq_u32_e32 0x6d, v60
	s_cbranch_execz .LBB0_12
; %bb.11:
	global_load_b128 v[0:3], v[0:1], off offset:10560
	v_mov_b32_e32 v60, 0x6d
	s_wait_loadcnt 0x0
	ds_store_b128 v61, v[0:3] offset:10560
.LBB0_12:
	s_wait_alu 0xfffe
	s_or_b32 exec_lo, exec_lo, s2
.LBB0_13:
	s_wait_alu 0xfffe
	s_or_b32 exec_lo, exec_lo, s1
	v_lshlrev_b32_e32 v0, 4, v60
	global_wb scope:SCOPE_SE
	s_wait_dscnt 0x0
	s_barrier_signal -1
	s_barrier_wait -1
	global_inv scope:SCOPE_SE
	v_add_nc_u32_e32 v184, 0, v0
	v_sub_nc_u32_e32 v10, 0, v0
	s_mov_b32 s1, exec_lo
                                        ; implicit-def: $vgpr4_vgpr5
	ds_load_b64 v[6:7], v184
	ds_load_b64 v[8:9], v10 offset:10560
	s_wait_dscnt 0x0
	v_add_f64_e32 v[0:1], v[6:7], v[8:9]
	v_add_f64_e64 v[2:3], v[6:7], -v[8:9]
	v_cmpx_ne_u32_e32 0, v60
	s_wait_alu 0xfffe
	s_xor_b32 s1, exec_lo, s1
	s_cbranch_execz .LBB0_15
; %bb.14:
	v_mov_b32_e32 v61, 0
	v_add_f64_e32 v[13:14], v[6:7], v[8:9]
	v_add_f64_e64 v[15:16], v[6:7], -v[8:9]
	s_delay_alu instid0(VALU_DEP_3) | instskip(NEXT) | instid1(VALU_DEP_1)
	v_lshlrev_b64_e32 v[0:1], 4, v[60:61]
	v_add_co_u32 v0, s0, s4, v0
	s_wait_alu 0xf1ff
	s_delay_alu instid0(VALU_DEP_2)
	v_add_co_ci_u32_e64 v1, s0, s5, v1, s0
	global_load_b128 v[2:5], v[0:1], off offset:10384
	ds_load_b64 v[0:1], v10 offset:10568
	ds_load_b64 v[11:12], v184 offset:8
	s_wait_dscnt 0x0
	v_add_f64_e32 v[6:7], v[0:1], v[11:12]
	v_add_f64_e64 v[0:1], v[11:12], -v[0:1]
	s_wait_loadcnt 0x0
	v_fma_f64 v[8:9], v[15:16], v[4:5], v[13:14]
	v_fma_f64 v[11:12], -v[15:16], v[4:5], v[13:14]
	s_delay_alu instid0(VALU_DEP_3) | instskip(SKIP_1) | instid1(VALU_DEP_4)
	v_fma_f64 v[13:14], v[6:7], v[4:5], -v[0:1]
	v_fma_f64 v[4:5], v[6:7], v[4:5], v[0:1]
	v_fma_f64 v[0:1], -v[6:7], v[2:3], v[8:9]
	s_delay_alu instid0(VALU_DEP_4) | instskip(NEXT) | instid1(VALU_DEP_4)
	v_fma_f64 v[6:7], v[6:7], v[2:3], v[11:12]
	v_fma_f64 v[8:9], v[15:16], v[2:3], v[13:14]
	s_delay_alu instid0(VALU_DEP_4)
	v_fma_f64 v[2:3], v[15:16], v[2:3], v[4:5]
	v_dual_mov_b32 v4, v60 :: v_dual_mov_b32 v5, v61
	ds_store_b128 v10, v[6:9] offset:10560
.LBB0_15:
	s_wait_alu 0xfffe
	s_and_not1_saveexec_b32 s0, s1
	s_cbranch_execz .LBB0_17
; %bb.16:
	v_mov_b32_e32 v8, 0
	ds_load_b128 v[4:7], v8 offset:5280
	s_wait_dscnt 0x0
	v_add_f64_e32 v[11:12], v[4:5], v[4:5]
	v_mul_f64_e32 v[13:14], -2.0, v[6:7]
	v_mov_b32_e32 v4, 0
	v_mov_b32_e32 v5, 0
	ds_store_b128 v8, v[11:14] offset:5280
.LBB0_17:
	s_wait_alu 0xfffe
	s_or_b32 exec_lo, exec_lo, s0
	v_lshlrev_b64_e32 v[4:5], 4, v[4:5]
	s_add_nc_u64 s[0:1], s[4:5], 0x2890
	s_mov_b32 s20, 0x8eee2c13
	s_mov_b32 s21, 0xbfed1bb4
	;; [unrolled: 1-line block ×4, first 2 shown]
	s_wait_alu 0xfffe
	v_add_co_u32 v8, s0, s0, v4
	s_wait_alu 0xf1ff
	v_add_co_ci_u32_e64 v9, s0, s1, v5, s0
	s_mov_b32 s10, 0xbb3a28a1
	s_mov_b32 s19, 0xbfefac9e
	;; [unrolled: 1-line block ×3, first 2 shown]
	s_clause 0x1
	global_load_b128 v[4:7], v[8:9], off offset:1760
	global_load_b128 v[11:14], v[8:9], off offset:3520
	ds_store_b128 v184, v[0:3]
	ds_load_b128 v[0:3], v184 offset:1760
	ds_load_b128 v[15:18], v10 offset:8800
	s_mov_b32 s11, 0xbfe82f19
	s_mov_b32 s2, 0xfd768dbf
	;; [unrolled: 1-line block ×8, first 2 shown]
	s_wait_alu 0xfffe
	s_mov_b32 s6, s2
	s_mov_b32 s22, 0x9bcd5057
	;; [unrolled: 1-line block ×11, first 2 shown]
	s_wait_dscnt 0x0
	v_add_f64_e32 v[8:9], v[0:1], v[15:16]
	v_add_f64_e32 v[19:20], v[17:18], v[2:3]
	v_add_f64_e64 v[15:16], v[0:1], -v[15:16]
	v_add_f64_e64 v[0:1], v[2:3], -v[17:18]
	s_mov_b32 s28, 0x8764f0ba
	s_mov_b32 s29, 0x3feaeb8c
	s_mov_b32 s1, exec_lo
	s_wait_loadcnt 0x1
	s_delay_alu instid0(VALU_DEP_2) | instskip(NEXT) | instid1(VALU_DEP_2)
	v_fma_f64 v[2:3], v[15:16], v[6:7], v[8:9]
	v_fma_f64 v[17:18], v[19:20], v[6:7], v[0:1]
	v_fma_f64 v[8:9], -v[15:16], v[6:7], v[8:9]
	v_fma_f64 v[21:22], v[19:20], v[6:7], -v[0:1]
	s_delay_alu instid0(VALU_DEP_4) | instskip(NEXT) | instid1(VALU_DEP_4)
	v_fma_f64 v[0:1], -v[19:20], v[4:5], v[2:3]
	v_fma_f64 v[2:3], v[15:16], v[4:5], v[17:18]
	s_delay_alu instid0(VALU_DEP_4) | instskip(NEXT) | instid1(VALU_DEP_4)
	v_fma_f64 v[6:7], v[19:20], v[4:5], v[8:9]
	v_fma_f64 v[8:9], v[15:16], v[4:5], v[21:22]
	ds_store_b128 v184, v[0:3] offset:1760
	ds_store_b128 v10, v[6:9] offset:8800
	ds_load_b128 v[0:3], v184 offset:3520
	ds_load_b128 v[4:7], v10 offset:7040
	s_wait_dscnt 0x0
	v_add_f64_e32 v[8:9], v[0:1], v[4:5]
	v_add_f64_e32 v[15:16], v[6:7], v[2:3]
	v_add_f64_e64 v[17:18], v[0:1], -v[4:5]
	v_add_f64_e64 v[0:1], v[2:3], -v[6:7]
	s_wait_loadcnt 0x0
	s_delay_alu instid0(VALU_DEP_2) | instskip(NEXT) | instid1(VALU_DEP_2)
	v_fma_f64 v[2:3], v[17:18], v[13:14], v[8:9]
	v_fma_f64 v[4:5], v[15:16], v[13:14], v[0:1]
	v_fma_f64 v[6:7], -v[17:18], v[13:14], v[8:9]
	v_fma_f64 v[8:9], v[15:16], v[13:14], -v[0:1]
	s_delay_alu instid0(VALU_DEP_4) | instskip(NEXT) | instid1(VALU_DEP_4)
	v_fma_f64 v[0:1], -v[15:16], v[11:12], v[2:3]
	v_fma_f64 v[2:3], v[17:18], v[11:12], v[4:5]
	s_delay_alu instid0(VALU_DEP_4) | instskip(NEXT) | instid1(VALU_DEP_4)
	v_fma_f64 v[4:5], v[15:16], v[11:12], v[6:7]
	v_fma_f64 v[6:7], v[17:18], v[11:12], v[8:9]
	ds_store_b128 v184, v[0:3] offset:3520
	ds_store_b128 v10, v[4:7] offset:7040
	global_wb scope:SCOPE_SE
	s_wait_dscnt 0x0
	s_barrier_signal -1
	s_barrier_wait -1
	global_inv scope:SCOPE_SE
	global_wb scope:SCOPE_SE
	s_barrier_signal -1
	s_barrier_wait -1
	global_inv scope:SCOPE_SE
	ds_load_b128 v[16:19], v184 offset:9600
	ds_load_b128 v[20:23], v184 offset:960
	ds_load_b128 v[36:39], v184
	ds_load_b128 v[24:27], v184 offset:8640
	ds_load_b128 v[44:47], v184 offset:1920
	;; [unrolled: 1-line block ×8, first 2 shown]
	global_wb scope:SCOPE_SE
	s_wait_dscnt 0x0
	s_barrier_signal -1
	s_barrier_wait -1
	global_inv scope:SCOPE_SE
	v_add_f64_e64 v[96:97], v[22:23], -v[18:19]
	v_add_f64_e64 v[82:83], v[20:21], -v[16:17]
	v_add_f64_e32 v[80:81], v[20:21], v[16:17]
	v_add_f64_e64 v[86:87], v[46:47], -v[26:27]
	v_add_f64_e32 v[106:107], v[22:23], v[18:19]
	v_add_f64_e64 v[68:69], v[44:45], -v[24:25]
	v_add_f64_e64 v[74:75], v[50:51], -v[30:31]
	v_add_f64_e32 v[70:71], v[44:45], v[24:25]
	v_add_f64_e64 v[64:65], v[48:49], -v[28:29]
	v_add_f64_e32 v[98:99], v[46:47], v[26:27]
	v_add_f64_e32 v[72:73], v[48:49], v[28:29]
	;; [unrolled: 1-line block ×3, first 2 shown]
	v_add_f64_e64 v[90:91], v[54:55], -v[34:35]
	v_add_f64_e64 v[66:67], v[52:53], -v[32:33]
	v_add_f64_e32 v[102:103], v[52:53], v[32:33]
	v_add_f64_e32 v[136:137], v[54:55], v[34:35]
	v_add_f64_e64 v[116:117], v[58:59], -v[42:43]
	v_add_f64_e64 v[84:85], v[56:57], -v[40:41]
	v_add_f64_e32 v[108:109], v[56:57], v[40:41]
	v_add_f64_e32 v[138:139], v[58:59], v[42:43]
	v_mul_f64_e32 v[92:93], s[20:21], v[96:97]
	v_mul_f64_e32 v[94:95], s[20:21], v[82:83]
	;; [unrolled: 1-line block ×6, first 2 shown]
	s_wait_alu 0xfffe
	v_mul_f64_e32 v[120:121], s[6:7], v[86:87]
	v_mul_f64_e32 v[124:125], s[6:7], v[68:69]
	;; [unrolled: 1-line block ×25, first 2 shown]
	v_fma_f64 v[0:1], v[80:81], s[14:15], v[92:93]
	v_fma_f64 v[2:3], v[106:107], s[14:15], -v[94:95]
	v_fma_f64 v[4:5], v[80:81], s[16:17], v[100:101]
	v_fma_f64 v[6:7], v[106:107], s[16:17], -v[104:105]
	;; [unrolled: 2-line block ×4, first 2 shown]
	v_fma_f64 v[152:153], v[72:73], s[22:23], v[88:89]
	v_fma_f64 v[140:141], v[80:81], s[12:13], v[146:147]
	v_fma_f64 v[156:157], v[114:115], s[22:23], -v[126:127]
	v_fma_f64 v[142:143], v[106:107], s[12:13], -v[154:155]
	v_fma_f64 v[168:169], v[102:103], s[16:17], v[110:111]
	v_fma_f64 v[170:171], v[136:137], s[16:17], -v[112:113]
	v_fma_f64 v[164:165], v[98:99], s[16:17], -v[162:163]
	v_fma_f64 v[176:177], v[102:103], s[28:29], v[128:129]
	v_fma_f64 v[185:186], v[136:137], s[28:29], -v[130:131]
	v_fma_f64 v[187:188], v[80:81], s[22:23], v[178:179]
	;; [unrolled: 2-line block ×3, first 2 shown]
	v_add_f64_e32 v[0:1], v[36:37], v[0:1]
	v_add_f64_e32 v[2:3], v[38:39], v[2:3]
	;; [unrolled: 1-line block ×5, first 2 shown]
	v_mul_f64_e32 v[142:143], s[10:11], v[84:85]
	v_add_f64_e32 v[187:188], v[36:37], v[187:188]
	v_add_f64_e32 v[0:1], v[8:9], v[0:1]
	;; [unrolled: 1-line block ×3, first 2 shown]
	v_fma_f64 v[8:9], v[72:73], s[14:15], v[132:133]
	v_add_f64_e32 v[4:5], v[12:13], v[4:5]
	v_fma_f64 v[10:11], v[114:115], s[14:15], -v[134:135]
	v_add_f64_e32 v[6:7], v[14:15], v[6:7]
	v_fma_f64 v[12:13], v[70:71], s[16:17], v[148:149]
	v_add_f64_e32 v[14:15], v[36:37], v[140:141]
	v_mul_f64_e32 v[140:141], s[10:11], v[116:117]
	v_add_f64_e32 v[164:165], v[164:165], v[166:167]
	v_fma_f64 v[166:167], v[138:139], s[28:29], -v[122:123]
	v_fma_f64 v[189:190], v[138:139], s[12:13], -v[142:143]
	v_add_f64_e32 v[0:1], v[152:153], v[0:1]
	v_add_f64_e32 v[2:3], v[156:157], v[2:3]
	v_mul_f64_e32 v[152:153], s[26:27], v[116:117]
	v_add_f64_e32 v[4:5], v[8:9], v[4:5]
	v_fma_f64 v[8:9], v[108:109], s[28:29], v[118:119]
	v_add_f64_e32 v[6:7], v[10:11], v[6:7]
	v_fma_f64 v[10:11], v[72:73], s[28:29], v[144:145]
	v_add_f64_e32 v[12:13], v[12:13], v[14:15]
	v_fma_f64 v[14:15], v[114:115], s[28:29], -v[150:151]
	v_mul_f64_e32 v[156:157], s[26:27], v[84:85]
	v_add_f64_e32 v[0:1], v[168:169], v[0:1]
	v_add_f64_e32 v[2:3], v[170:171], v[2:3]
	v_fma_f64 v[168:169], v[106:107], s[22:23], -v[182:183]
	v_fma_f64 v[170:171], v[108:109], s[12:13], v[140:141]
	v_add_f64_e32 v[4:5], v[176:177], v[4:5]
	v_add_f64_e32 v[6:7], v[185:186], v[6:7]
	v_fma_f64 v[185:186], v[102:103], s[22:23], v[158:159]
	v_add_f64_e32 v[10:11], v[10:11], v[12:13]
	v_add_f64_e32 v[164:165], v[14:15], v[164:165]
	v_mul_f64_e32 v[176:177], s[10:11], v[64:65]
	v_add_f64_e32 v[12:13], v[8:9], v[0:1]
	v_add_f64_e32 v[14:15], v[166:167], v[2:3]
	v_fma_f64 v[8:9], v[98:99], s[28:29], -v[180:181]
	v_add_f64_e32 v[166:167], v[38:39], v[168:169]
	v_add_f64_e32 v[0:1], v[170:171], v[4:5]
	;; [unrolled: 1-line block ×3, first 2 shown]
	v_mul_f64_e32 v[168:169], s[26:27], v[90:91]
	v_fma_f64 v[4:5], v[108:109], s[14:15], v[152:153]
	v_add_f64_e32 v[6:7], v[185:186], v[10:11]
	v_fma_f64 v[10:11], v[138:139], s[14:15], -v[156:157]
	v_add_f64_e32 v[164:165], v[191:192], v[164:165]
	v_mul_f64_e32 v[170:171], s[26:27], v[66:67]
	v_add_f64_e32 v[185:186], v[193:194], v[187:188]
	v_fma_f64 v[187:188], v[72:73], s[12:13], v[172:173]
	v_fma_f64 v[189:190], v[114:115], s[12:13], -v[176:177]
	v_add_f64_e32 v[166:167], v[8:9], v[166:167]
	v_add_f64_e32 v[8:9], v[4:5], v[6:7]
	v_fma_f64 v[4:5], v[102:103], s[14:15], v[168:169]
	v_add_f64_e32 v[10:11], v[10:11], v[164:165]
	v_mul_f64_e32 v[164:165], s[18:19], v[116:117]
	v_add_f64_e32 v[6:7], v[187:188], v[185:186]
	v_fma_f64 v[185:186], v[136:137], s[14:15], -v[170:171]
	v_add_f64_e32 v[187:188], v[189:190], v[166:167]
	v_mul_f64_e32 v[166:167], s[18:19], v[84:85]
	s_delay_alu instid0(VALU_DEP_4) | instskip(SKIP_1) | instid1(VALU_DEP_4)
	v_add_f64_e32 v[4:5], v[4:5], v[6:7]
	v_fma_f64 v[6:7], v[108:109], s[16:17], v[164:165]
	v_add_f64_e32 v[185:186], v[185:186], v[187:188]
	s_delay_alu instid0(VALU_DEP_4) | instskip(NEXT) | instid1(VALU_DEP_3)
	v_fma_f64 v[187:188], v[138:139], s[16:17], -v[166:167]
	v_add_f64_e32 v[4:5], v[6:7], v[4:5]
	s_delay_alu instid0(VALU_DEP_2)
	v_add_f64_e32 v[6:7], v[187:188], v[185:186]
	v_cmpx_gt_u32_e32 60, v60
	s_cbranch_execz .LBB0_19
; %bb.18:
	v_add_f64_e32 v[22:23], v[38:39], v[22:23]
	v_add_f64_e32 v[20:21], v[36:37], v[20:21]
	v_mul_f64_e32 v[185:186], s[16:17], v[106:107]
	v_mul_f64_e32 v[187:188], s[16:17], v[80:81]
	;; [unrolled: 1-line block ×6, first 2 shown]
	v_add_f64_e32 v[22:23], v[22:23], v[46:47]
	v_add_f64_e32 v[20:21], v[20:21], v[44:45]
	v_mul_f64_e32 v[44:45], s[22:23], v[106:107]
	v_mul_f64_e32 v[46:47], s[22:23], v[80:81]
	v_add_f64_e32 v[104:105], v[104:105], v[185:186]
	v_mul_f64_e32 v[185:186], s[22:23], v[98:99]
	v_add_f64_e64 v[100:101], v[187:188], -v[100:101]
	v_mul_f64_e32 v[187:188], s[22:23], v[70:71]
	v_add_f64_e32 v[22:23], v[22:23], v[50:51]
	v_add_f64_e32 v[20:21], v[20:21], v[48:49]
	v_mul_f64_e32 v[48:49], s[12:13], v[106:107]
	v_mul_f64_e32 v[50:51], s[12:13], v[80:81]
	v_add_f64_e32 v[44:45], v[182:183], v[44:45]
	v_mul_f64_e32 v[182:183], s[28:29], v[98:99]
	v_add_f64_e64 v[46:47], v[46:47], -v[178:179]
	v_mul_f64_e32 v[178:179], s[28:29], v[70:71]
	v_add_f64_e32 v[124:125], v[124:125], v[185:186]
	v_add_f64_e64 v[120:121], v[187:188], -v[120:121]
	v_mul_f64_e32 v[185:186], s[28:29], v[114:115]
	v_mul_f64_e32 v[187:188], s[28:29], v[72:73]
	v_add_f64_e32 v[22:23], v[22:23], v[54:55]
	v_add_f64_e32 v[20:21], v[20:21], v[52:53]
	v_mul_f64_e32 v[52:53], s[14:15], v[106:107]
	v_mul_f64_e32 v[54:55], s[14:15], v[80:81]
	;; [unrolled: 1-line block ×3, first 2 shown]
	v_add_f64_e32 v[48:49], v[154:155], v[48:49]
	v_mul_f64_e32 v[154:155], s[16:17], v[98:99]
	v_add_f64_e64 v[50:51], v[50:51], -v[146:147]
	v_mul_f64_e32 v[146:147], s[16:17], v[70:71]
	v_add_f64_e32 v[180:181], v[180:181], v[182:183]
	v_add_f64_e64 v[174:175], v[178:179], -v[174:175]
	v_mul_f64_e32 v[178:179], s[12:13], v[114:115]
	v_add_f64_e32 v[44:45], v[38:39], v[44:45]
	v_add_f64_e32 v[46:47], v[36:37], v[46:47]
	v_mul_f64_e32 v[182:183], s[14:15], v[72:73]
	v_add_f64_e32 v[150:151], v[150:151], v[185:186]
	v_add_f64_e64 v[144:145], v[187:188], -v[144:145]
	v_add_f64_e32 v[22:23], v[22:23], v[58:59]
	v_add_f64_e32 v[20:21], v[20:21], v[56:57]
	;; [unrolled: 1-line block ×3, first 2 shown]
	v_mul_f64_e32 v[94:95], s[12:13], v[98:99]
	v_add_f64_e64 v[54:55], v[54:55], -v[92:93]
	v_fma_f64 v[92:93], v[82:83], s[30:31], v[106:107]
	v_fma_f64 v[82:83], v[82:83], s[34:35], v[106:107]
	v_mul_f64_e32 v[106:107], s[12:13], v[70:71]
	v_mul_f64_e32 v[98:99], s[14:15], v[98:99]
	v_fma_f64 v[56:57], v[80:81], s[28:29], -v[96:97]
	v_fma_f64 v[58:59], v[80:81], s[28:29], v[96:97]
	v_mul_f64_e32 v[80:81], s[22:23], v[72:73]
	v_mul_f64_e32 v[96:97], s[22:23], v[114:115]
	v_add_f64_e32 v[154:155], v[162:163], v[154:155]
	v_mul_f64_e32 v[162:163], s[12:13], v[72:73]
	v_add_f64_e64 v[146:147], v[146:147], -v[148:149]
	v_mul_f64_e32 v[148:149], s[14:15], v[114:115]
	v_add_f64_e32 v[48:49], v[38:39], v[48:49]
	v_add_f64_e32 v[50:51], v[36:37], v[50:51]
	v_mul_f64_e32 v[114:115], s[16:17], v[114:115]
	v_add_f64_e32 v[176:177], v[176:177], v[178:179]
	v_mul_f64_e32 v[178:179], s[14:15], v[102:103]
	v_add_f64_e32 v[44:45], v[180:181], v[44:45]
	v_add_f64_e32 v[46:47], v[174:175], v[46:47]
	v_add_f64_e64 v[132:133], v[182:183], -v[132:133]
	v_add_f64_e32 v[22:23], v[22:23], v[42:43]
	v_add_f64_e32 v[20:21], v[20:21], v[40:41]
	v_add_f64_e32 v[52:53], v[38:39], v[52:53]
	v_add_f64_e32 v[78:79], v[78:79], v[94:95]
	v_add_f64_e32 v[54:55], v[36:37], v[54:55]
	v_add_f64_e32 v[92:93], v[38:39], v[92:93]
	v_mul_f64_e32 v[42:43], s[16:17], v[102:103]
	v_add_f64_e64 v[76:77], v[106:107], -v[76:77]
	v_fma_f64 v[94:95], v[68:69], s[26:27], v[98:99]
	v_fma_f64 v[106:107], v[70:71], s[14:15], v[86:87]
	;; [unrolled: 1-line block ×3, first 2 shown]
	v_fma_f64 v[70:71], v[70:71], s[14:15], -v[86:87]
	v_add_f64_e32 v[86:87], v[38:39], v[104:105]
	v_add_f64_e32 v[98:99], v[36:37], v[100:101]
	v_add_f64_e32 v[38:39], v[38:39], v[82:83]
	v_add_f64_e32 v[40:41], v[36:37], v[56:57]
	v_add_f64_e32 v[36:37], v[36:37], v[58:59]
	v_mul_f64_e32 v[56:57], s[16:17], v[136:137]
	v_add_f64_e64 v[162:163], v[162:163], -v[172:173]
	v_mul_f64_e32 v[172:173], s[14:15], v[136:137]
	v_add_f64_e32 v[96:97], v[126:127], v[96:97]
	v_add_f64_e64 v[80:81], v[80:81], -v[88:89]
	v_mul_f64_e32 v[58:59], s[28:29], v[102:103]
	v_mul_f64_e32 v[82:83], s[28:29], v[136:137]
	v_add_f64_e32 v[134:135], v[134:135], v[148:149]
	v_fma_f64 v[126:127], v[72:73], s[16:17], v[74:75]
	v_fma_f64 v[72:73], v[72:73], s[16:17], -v[74:75]
	v_mul_f64_e32 v[100:101], s[22:23], v[102:103]
	v_mul_f64_e32 v[104:105], s[22:23], v[136:137]
	v_add_f64_e32 v[48:49], v[154:155], v[48:49]
	v_add_f64_e32 v[50:51], v[146:147], v[50:51]
	v_mul_f64_e32 v[136:137], s[12:13], v[136:137]
	v_fma_f64 v[88:89], v[64:65], s[24:25], v[114:115]
	v_fma_f64 v[64:65], v[64:65], s[18:19], v[114:115]
	v_mul_f64_e32 v[114:115], s[2:3], v[116:117]
	v_add_f64_e32 v[44:45], v[176:177], v[44:45]
	v_add_f64_e32 v[22:23], v[22:23], v[34:35]
	v_add_f64_e32 v[20:21], v[20:21], v[32:33]
	v_add_f64_e32 v[52:53], v[78:79], v[52:53]
	v_mul_f64_e32 v[78:79], s[14:15], v[108:109]
	v_add_f64_e64 v[42:43], v[42:43], -v[110:111]
	v_add_f64_e32 v[54:55], v[76:77], v[54:55]
	v_add_f64_e32 v[76:77], v[94:95], v[92:93]
	v_mul_f64_e32 v[94:95], s[16:17], v[108:109]
	v_mul_f64_e32 v[92:93], s[14:15], v[138:139]
	s_mov_b32 s15, 0x3fe82f19
	v_add_f64_e32 v[74:75], v[124:125], v[86:87]
	v_add_f64_e32 v[86:87], v[120:121], v[98:99]
	;; [unrolled: 1-line block ×5, first 2 shown]
	v_mul_f64_e32 v[36:37], s[28:29], v[108:109]
	v_mul_f64_e32 v[40:41], s[28:29], v[138:139]
	;; [unrolled: 1-line block ×3, first 2 shown]
	v_add_f64_e32 v[116:117], v[170:171], v[172:173]
	v_add_f64_e64 v[120:121], v[178:179], -v[168:169]
	v_add_f64_e32 v[56:57], v[112:113], v[56:57]
	v_add_f64_e32 v[46:47], v[162:163], v[46:47]
	v_mul_f64_e32 v[68:69], s[12:13], v[108:109]
	v_mul_f64_e32 v[70:71], s[12:13], v[138:139]
	v_add_f64_e32 v[82:83], v[130:131], v[82:83]
	v_add_f64_e64 v[58:59], v[58:59], -v[128:129]
	s_mov_b32 s14, s10
	v_add_f64_e32 v[104:105], v[160:161], v[104:105]
	v_add_f64_e64 v[100:101], v[100:101], -v[158:159]
	v_add_f64_e32 v[48:49], v[150:151], v[48:49]
	v_add_f64_e32 v[50:51], v[144:145], v[50:51]
	s_wait_alu 0xfffe
	v_fma_f64 v[110:111], v[66:67], s[14:15], v[136:137]
	v_fma_f64 v[66:67], v[66:67], s[10:11], v[136:137]
	v_mul_f64_e32 v[106:107], s[22:23], v[138:139]
	v_fma_f64 v[112:113], v[102:103], s[12:13], v[90:91]
	v_fma_f64 v[90:91], v[102:103], s[12:13], -v[90:91]
	v_add_f64_e32 v[22:23], v[22:23], v[30:31]
	v_add_f64_e32 v[20:21], v[20:21], v[28:29]
	;; [unrolled: 1-line block ×5, first 2 shown]
	v_fma_f64 v[88:89], v[108:109], s[22:23], -v[114:115]
	v_fma_f64 v[80:81], v[108:109], s[22:23], v[114:115]
	v_add_f64_e32 v[74:75], v[134:135], v[74:75]
	v_add_f64_e32 v[86:87], v[132:133], v[86:87]
	;; [unrolled: 1-line block ×5, first 2 shown]
	v_add_f64_e64 v[34:35], v[94:95], -v[164:165]
	v_add_f64_e32 v[40:41], v[122:123], v[40:41]
	v_add_f64_e32 v[32:33], v[166:167], v[98:99]
	v_add_f64_e64 v[36:37], v[36:37], -v[118:119]
	v_add_f64_e32 v[44:45], v[116:117], v[44:45]
	v_add_f64_e32 v[64:65], v[156:157], v[92:93]
	;; [unrolled: 1-line block ×3, first 2 shown]
	v_add_f64_e64 v[68:69], v[68:69], -v[140:141]
	v_add_f64_e32 v[70:71], v[142:143], v[70:71]
	v_add_f64_e64 v[72:73], v[78:79], -v[152:153]
	v_add_f64_e32 v[48:49], v[104:105], v[48:49]
	v_add_f64_e32 v[50:51], v[100:101], v[50:51]
	v_fma_f64 v[78:79], v[84:85], s[6:7], v[106:107]
	v_fma_f64 v[84:85], v[84:85], s[2:3], v[106:107]
	v_add_f64_e32 v[52:53], v[56:57], v[52:53]
	v_add_f64_e32 v[42:43], v[42:43], v[54:55]
	;; [unrolled: 1-line block ×11, first 2 shown]
	v_mad_u32_u24 v44, 0xa0, v60, v184
	v_add_f64_e32 v[20:21], v[34:35], v[46:47]
	v_add_f64_e32 v[26:27], v[64:65], v[48:49]
	;; [unrolled: 1-line block ×13, first 2 shown]
	ds_store_b128 v44, v[4:7] offset:96
	ds_store_b128 v44, v[8:11] offset:112
	;; [unrolled: 1-line block ×8, first 2 shown]
	ds_store_b128 v44, v[16:19]
	ds_store_b128 v44, v[40:43] offset:16
	ds_store_b128 v44, v[36:39] offset:160
.LBB0_19:
	s_or_b32 exec_lo, exec_lo, s1
	v_and_b32_e32 v16, 0xff, v60
	global_wb scope:SCOPE_SE
	s_wait_dscnt 0x0
	s_barrier_signal -1
	s_barrier_wait -1
	global_inv scope:SCOPE_SE
	v_mul_lo_u16 v16, 0x75, v16
	s_mov_b32 s0, 0xe8584caa
	s_mov_b32 s1, 0x3febb67a
	;; [unrolled: 1-line block ×3, first 2 shown]
	s_wait_alu 0xfffe
	s_mov_b32 s2, s0
	v_lshrrev_b16 v16, 8, v16
	s_delay_alu instid0(VALU_DEP_1) | instskip(NEXT) | instid1(VALU_DEP_1)
	v_sub_nc_u16 v17, v60, v16
	v_lshrrev_b16 v17, 1, v17
	s_delay_alu instid0(VALU_DEP_1) | instskip(NEXT) | instid1(VALU_DEP_1)
	v_and_b32_e32 v17, 0x7f, v17
	v_add_nc_u16 v16, v17, v16
	s_delay_alu instid0(VALU_DEP_1) | instskip(NEXT) | instid1(VALU_DEP_1)
	v_lshrrev_b16 v56, 3, v16
	v_mul_lo_u16 v16, v56, 11
	s_delay_alu instid0(VALU_DEP_1) | instskip(NEXT) | instid1(VALU_DEP_1)
	v_sub_nc_u16 v16, v60, v16
	v_and_b32_e32 v57, 0xff, v16
	s_delay_alu instid0(VALU_DEP_1) | instskip(NEXT) | instid1(VALU_DEP_1)
	v_mul_u32_u24_e32 v16, 5, v57
	v_lshlrev_b32_e32 v32, 4, v16
	s_clause 0x4
	global_load_b128 v[16:19], v32, s[4:5] offset:32
	global_load_b128 v[20:23], v32, s[4:5] offset:64
	global_load_b128 v[24:27], v32, s[4:5]
	global_load_b128 v[28:31], v32, s[4:5] offset:16
	global_load_b128 v[32:35], v32, s[4:5] offset:48
	ds_load_b128 v[36:39], v184 offset:5280
	ds_load_b128 v[40:43], v184 offset:8800
	;; [unrolled: 1-line block ×3, first 2 shown]
	s_wait_loadcnt_dscnt 0x402
	v_mul_f64_e32 v[48:49], v[38:39], v[18:19]
	v_mul_f64_e32 v[18:19], v[36:37], v[18:19]
	s_wait_loadcnt_dscnt 0x301
	v_mul_f64_e32 v[50:51], v[40:41], v[22:23]
	v_mul_f64_e32 v[22:23], v[42:43], v[22:23]
	;; [unrolled: 3-line block ×3, first 2 shown]
	v_fma_f64 v[36:37], v[36:37], v[16:17], -v[48:49]
	v_fma_f64 v[38:39], v[38:39], v[16:17], v[18:19]
	v_fma_f64 v[42:43], v[42:43], v[20:21], v[50:51]
	v_fma_f64 v[40:41], v[40:41], v[20:21], -v[22:23]
	ds_load_b128 v[16:19], v184 offset:3520
	ds_load_b128 v[20:23], v184 offset:7040
	v_fma_f64 v[44:45], v[44:45], v[24:25], -v[52:53]
	v_fma_f64 v[24:25], v[46:47], v[24:25], v[26:27]
	s_wait_loadcnt_dscnt 0x101
	v_mul_f64_e32 v[48:49], v[18:19], v[30:31]
	v_mul_f64_e32 v[30:31], v[16:17], v[30:31]
	s_wait_loadcnt_dscnt 0x0
	v_mul_f64_e32 v[50:51], v[22:23], v[34:35]
	v_mul_f64_e32 v[34:35], v[20:21], v[34:35]
	v_add_f64_e32 v[26:27], v[38:39], v[42:43]
	v_add_f64_e32 v[46:47], v[36:37], v[40:41]
	v_fma_f64 v[48:49], v[16:17], v[28:29], -v[48:49]
	v_fma_f64 v[28:29], v[18:19], v[28:29], v[30:31]
	v_fma_f64 v[20:21], v[20:21], v[32:33], -v[50:51]
	v_fma_f64 v[22:23], v[22:23], v[32:33], v[34:35]
	v_add_f64_e64 v[16:17], v[38:39], -v[42:43]
	v_add_f64_e64 v[18:19], v[36:37], -v[40:41]
	v_add_f64_e32 v[36:37], v[44:45], v[36:37]
	v_fma_f64 v[26:27], v[26:27], -0.5, v[24:25]
	v_fma_f64 v[30:31], v[46:47], -0.5, v[44:45]
	v_add_f64_e32 v[24:25], v[24:25], v[38:39]
	v_add_f64_e32 v[32:33], v[48:49], v[20:21]
	;; [unrolled: 1-line block ×3, first 2 shown]
	v_add_f64_e64 v[54:55], v[28:29], -v[22:23]
	s_wait_alu 0xfffe
	v_fma_f64 v[46:47], v[18:19], s[2:3], v[26:27]
	v_fma_f64 v[50:51], v[16:17], s[2:3], v[30:31]
	;; [unrolled: 1-line block ×4, first 2 shown]
	ds_load_b128 v[16:19], v184
	v_add_f64_e32 v[24:25], v[24:25], v[42:43]
	global_wb scope:SCOPE_SE
	s_wait_dscnt 0x0
	s_barrier_signal -1
	s_barrier_wait -1
	global_inv scope:SCOPE_SE
	v_add_f64_e32 v[52:53], v[16:17], v[48:49]
	v_add_f64_e32 v[28:29], v[18:19], v[28:29]
	v_fma_f64 v[16:17], v[32:33], -0.5, v[16:17]
	v_add_f64_e64 v[32:33], v[48:49], -v[20:21]
	v_fma_f64 v[18:19], v[34:35], -0.5, v[18:19]
	v_mul_f64_e32 v[34:35], s[0:1], v[46:47]
	v_mul_f64_e32 v[38:39], -0.5, v[50:51]
	v_mul_f64_e32 v[44:45], s[2:3], v[30:31]
	v_mul_f64_e32 v[48:49], -0.5, v[26:27]
	v_add_f64_e32 v[20:21], v[52:53], v[20:21]
	v_add_f64_e32 v[22:23], v[28:29], v[22:23]
	;; [unrolled: 1-line block ×3, first 2 shown]
	v_fma_f64 v[36:37], v[54:55], s[0:1], v[16:17]
	v_fma_f64 v[40:41], v[54:55], s[2:3], v[16:17]
	v_fma_f64 v[42:43], v[32:33], s[2:3], v[18:19]
	v_fma_f64 v[52:53], v[32:33], s[0:1], v[18:19]
	v_fma_f64 v[54:55], v[30:31], 0.5, v[34:35]
	v_fma_f64 v[26:27], v[26:27], s[0:1], v[38:39]
	v_fma_f64 v[38:39], v[46:47], 0.5, v[44:45]
	v_fma_f64 v[44:45], v[50:51], s[2:3], v[48:49]
	v_cmp_gt_u32_e64 s0, 0x42, v60
	v_add_f64_e32 v[18:19], v[22:23], v[24:25]
	v_add_f64_e32 v[16:17], v[20:21], v[28:29]
	v_add_f64_e64 v[32:33], v[20:21], -v[28:29]
	v_add_f64_e64 v[34:35], v[22:23], -v[24:25]
	v_add_f64_e32 v[28:29], v[36:37], v[54:55]
	v_add_f64_e32 v[20:21], v[40:41], v[26:27]
	;; [unrolled: 1-line block ×4, first 2 shown]
	v_add_f64_e64 v[24:25], v[36:37], -v[54:55]
	v_add_f64_e64 v[36:37], v[40:41], -v[26:27]
	;; [unrolled: 1-line block ×4, first 2 shown]
	v_and_b32_e32 v40, 0xffff, v56
	v_lshlrev_b32_e32 v41, 4, v57
	s_delay_alu instid0(VALU_DEP_2) | instskip(NEXT) | instid1(VALU_DEP_1)
	v_mul_u32_u24_e32 v40, 0x420, v40
	v_add3_u32 v40, 0, v40, v41
	ds_store_b128 v40, v[16:19]
	ds_store_b128 v40, v[28:31] offset:176
	ds_store_b128 v40, v[20:23] offset:352
	;; [unrolled: 1-line block ×5, first 2 shown]
	global_wb scope:SCOPE_SE
	s_wait_dscnt 0x0
	s_barrier_signal -1
	s_barrier_wait -1
	global_inv scope:SCOPE_SE
	s_and_saveexec_b32 s1, s0
	s_cbranch_execz .LBB0_21
; %bb.20:
	ds_load_b128 v[16:19], v184
	ds_load_b128 v[28:31], v184 offset:1056
	ds_load_b128 v[20:23], v184 offset:2112
	;; [unrolled: 1-line block ×9, first 2 shown]
.LBB0_21:
	s_wait_alu 0xfffe
	s_or_b32 exec_lo, exec_lo, s1
	global_wb scope:SCOPE_SE
	s_wait_dscnt 0x0
	s_barrier_signal -1
	s_barrier_wait -1
	global_inv scope:SCOPE_SE
	s_and_saveexec_b32 s10, s0
	s_cbranch_execz .LBB0_23
; %bb.22:
	v_dual_mov_b32 v41, 0 :: v_dual_add_nc_u32 v40, 0xffffffbe, v60
	s_mov_b32 s3, 0xbfee6f0e
	s_mov_b32 s7, 0xbfe2cf23
	;; [unrolled: 1-line block ×3, first 2 shown]
	s_delay_alu instid0(VALU_DEP_1) | instskip(SKIP_3) | instid1(VALU_DEP_1)
	v_cndmask_b32_e64 v40, v40, v60, s0
	s_mov_b32 s13, 0x3fd3c6ef
	s_mov_b32 s14, 0x9b97f4a8
	;; [unrolled: 1-line block ×3, first 2 shown]
	v_mul_i32_i24_e32 v40, 9, v40
	s_delay_alu instid0(VALU_DEP_1) | instskip(NEXT) | instid1(VALU_DEP_1)
	v_lshlrev_b64_e32 v[40:41], 4, v[40:41]
	v_add_co_u32 v76, s0, s4, v40
	s_wait_alu 0xf1ff
	s_delay_alu instid0(VALU_DEP_2)
	v_add_co_ci_u32_e64 v77, s0, s5, v41, s0
	s_mov_b32 s0, 0x134454ff
	s_mov_b32 s1, 0x3fee6f0e
	s_wait_alu 0xfffe
	s_mov_b32 s2, s0
	s_clause 0x8
	global_load_b128 v[40:43], v[76:77], off offset:912
	global_load_b128 v[44:47], v[76:77], off offset:944
	;; [unrolled: 1-line block ×9, first 2 shown]
	s_mov_b32 s4, 0x4755a5e
	s_mov_b32 s5, 0x3fe2cf23
	s_wait_alu 0xfffe
	s_mov_b32 s6, s4
	s_wait_loadcnt 0x8
	v_mul_f64_e32 v[80:81], v[34:35], v[42:43]
	v_mul_f64_e32 v[42:43], v[32:33], v[42:43]
	s_wait_loadcnt 0x7
	v_mul_f64_e32 v[82:83], v[36:37], v[46:47]
	s_wait_loadcnt 0x6
	v_mul_f64_e32 v[84:85], v[8:9], v[50:51]
	s_wait_loadcnt 0x5
	v_mul_f64_e32 v[86:87], v[12:13], v[54:55]
	v_mul_f64_e32 v[54:55], v[14:15], v[54:55]
	;; [unrolled: 1-line block ×4, first 2 shown]
	s_wait_loadcnt 0x4
	v_mul_f64_e32 v[88:89], v[30:31], v[58:59]
	v_mul_f64_e32 v[58:59], v[28:29], v[58:59]
	v_fma_f64 v[32:33], v[32:33], v[40:41], -v[80:81]
	v_fma_f64 v[34:35], v[34:35], v[40:41], v[42:43]
	v_fma_f64 v[38:39], v[38:39], v[44:45], v[82:83]
	;; [unrolled: 1-line block ×4, first 2 shown]
	v_fma_f64 v[12:13], v[12:13], v[52:53], -v[54:55]
	v_fma_f64 v[36:37], v[36:37], v[44:45], -v[46:47]
	;; [unrolled: 1-line block ×3, first 2 shown]
	s_wait_loadcnt 0x3
	v_mul_f64_e32 v[40:41], v[24:25], v[66:67]
	s_wait_loadcnt 0x2
	v_mul_f64_e32 v[42:43], v[4:5], v[70:71]
	;; [unrolled: 2-line block ×4, first 2 shown]
	v_mul_f64_e32 v[48:49], v[26:27], v[66:67]
	v_mul_f64_e32 v[50:51], v[6:7], v[70:71]
	;; [unrolled: 1-line block ×3, first 2 shown]
	v_fma_f64 v[28:29], v[28:29], v[56:57], -v[88:89]
	v_fma_f64 v[30:31], v[30:31], v[56:57], v[58:59]
	v_mul_f64_e32 v[66:67], v[2:3], v[78:79]
	v_add_f64_e32 v[54:55], v[38:39], v[10:11]
	v_add_f64_e32 v[56:57], v[34:35], v[14:15]
	;; [unrolled: 1-line block ×3, first 2 shown]
	v_add_f64_e64 v[74:75], v[10:11], -v[14:15]
	v_add_f64_e32 v[70:71], v[36:37], v[8:9]
	v_fma_f64 v[26:27], v[26:27], v[64:65], v[40:41]
	v_fma_f64 v[6:7], v[6:7], v[68:69], v[42:43]
	;; [unrolled: 1-line block ×4, first 2 shown]
	v_fma_f64 v[24:25], v[24:25], v[64:65], -v[48:49]
	v_fma_f64 v[4:5], v[4:5], v[68:69], -v[50:51]
	;; [unrolled: 1-line block ×3, first 2 shown]
	v_add_f64_e64 v[40:41], v[38:39], -v[10:11]
	v_add_f64_e64 v[42:43], v[36:37], -v[8:9]
	;; [unrolled: 1-line block ×3, first 2 shown]
	v_fma_f64 v[0:1], v[0:1], v[76:77], -v[66:67]
	v_add_f64_e64 v[52:53], v[34:35], -v[14:15]
	v_add_f64_e64 v[64:65], v[14:15], -v[10:11]
	;; [unrolled: 1-line block ×6, first 2 shown]
	v_fma_f64 v[46:47], v[54:55], -0.5, v[30:31]
	v_fma_f64 v[48:49], v[56:57], -0.5, v[30:31]
	;; [unrolled: 1-line block ×3, first 2 shown]
	v_add_f64_e64 v[58:59], v[34:35], -v[38:39]
	v_fma_f64 v[54:55], v[70:71], -0.5, v[28:29]
	v_add_f64_e64 v[70:71], v[8:9], -v[12:13]
	v_add_f64_e32 v[56:57], v[26:27], v[6:7]
	v_add_f64_e32 v[96:97], v[18:19], v[22:23]
	;; [unrolled: 1-line block ×7, first 2 shown]
	v_add_f64_e64 v[92:93], v[24:25], -v[4:5]
	v_add_f64_e64 v[34:35], v[22:23], -v[2:3]
	v_add_f64_e32 v[84:85], v[20:21], v[0:1]
	v_add_f64_e64 v[94:95], v[20:21], -v[0:1]
	v_add_f64_e64 v[98:99], v[26:27], -v[6:7]
	v_fma_f64 v[78:79], v[44:45], s[0:1], v[46:47]
	v_fma_f64 v[80:81], v[42:43], s[2:3], v[48:49]
	;; [unrolled: 1-line block ×8, first 2 shown]
	v_fma_f64 v[32:33], v[56:57], -0.5, v[18:19]
	v_add_f64_e32 v[56:57], v[58:59], v[64:65]
	v_fma_f64 v[18:19], v[66:67], -0.5, v[18:19]
	v_add_f64_e32 v[58:59], v[68:69], v[70:71]
	v_add_f64_e32 v[64:65], v[72:73], v[74:75]
	v_fma_f64 v[66:67], v[76:77], -0.5, v[16:17]
	v_add_f64_e32 v[74:75], v[86:87], v[88:89]
	v_fma_f64 v[16:17], v[84:85], -0.5, v[16:17]
	v_add_f64_e32 v[30:31], v[30:31], v[38:39]
	v_add_f64_e32 v[28:29], v[28:29], v[36:37]
	v_fma_f64 v[68:69], v[42:43], s[4:5], v[78:79]
	v_fma_f64 v[70:71], v[44:45], s[4:5], v[80:81]
	;; [unrolled: 1-line block ×3, first 2 shown]
	s_wait_alu 0xfffe
	v_fma_f64 v[42:43], v[42:43], s[6:7], v[46:47]
	v_fma_f64 v[76:77], v[40:41], s[4:5], v[90:91]
	;; [unrolled: 1-line block ×5, first 2 shown]
	v_add_f64_e64 v[48:49], v[22:23], -v[26:27]
	v_add_f64_e64 v[22:23], v[26:27], -v[22:23]
	;; [unrolled: 1-line block ×4, first 2 shown]
	v_add_f64_e32 v[26:27], v[96:97], v[26:27]
	v_add_f64_e32 v[24:25], v[100:101], v[24:25]
	v_add_f64_e64 v[50:51], v[2:3], -v[6:7]
	v_add_f64_e64 v[52:53], v[6:7], -v[2:3]
	;; [unrolled: 1-line block ×3, first 2 shown]
	v_fma_f64 v[36:37], v[94:95], s[0:1], v[32:33]
	v_fma_f64 v[38:39], v[92:93], s[2:3], v[18:19]
	;; [unrolled: 1-line block ×7, first 2 shown]
	v_add_f64_e64 v[80:81], v[4:5], -v[0:1]
	v_fma_f64 v[18:19], v[92:93], s[0:1], v[18:19]
	v_add_f64_e32 v[10:11], v[30:31], v[10:11]
	v_add_f64_e32 v[8:9], v[28:29], v[8:9]
	v_fma_f64 v[68:69], v[56:57], s[12:13], v[68:69]
	v_fma_f64 v[70:71], v[64:65], s[12:13], v[70:71]
	;; [unrolled: 1-line block ×8, first 2 shown]
	v_add_f64_e32 v[6:7], v[26:27], v[6:7]
	v_add_f64_e32 v[4:5], v[24:25], v[4:5]
	;; [unrolled: 1-line block ×5, first 2 shown]
	v_fma_f64 v[24:25], v[92:93], s[4:5], v[36:37]
	v_fma_f64 v[26:27], v[94:95], s[4:5], v[38:39]
	v_fma_f64 v[28:29], v[92:93], s[6:7], v[32:33]
	v_fma_f64 v[30:31], v[98:99], s[6:7], v[82:83]
	v_fma_f64 v[52:53], v[34:35], s[6:7], v[84:85]
	v_fma_f64 v[16:17], v[34:35], s[4:5], v[16:17]
	v_fma_f64 v[34:35], v[98:99], s[4:5], v[66:67]
	v_add_f64_e32 v[20:21], v[20:21], v[80:81]
	v_fma_f64 v[18:19], v[94:95], s[6:7], v[18:19]
	v_add_f64_e32 v[10:11], v[10:11], v[14:15]
	v_add_f64_e32 v[8:9], v[8:9], v[12:13]
	v_mul_f64_e32 v[32:33], s[14:15], v[68:69]
	v_mul_f64_e32 v[36:37], s[12:13], v[70:71]
	;; [unrolled: 1-line block ×8, first 2 shown]
	v_add_f64_e32 v[6:7], v[6:7], v[2:3]
	v_add_f64_e32 v[4:5], v[4:5], v[0:1]
	v_fma_f64 v[12:13], v[48:49], s[12:13], v[24:25]
	v_fma_f64 v[24:25], v[22:23], s[12:13], v[26:27]
	;; [unrolled: 1-line block ×6, first 2 shown]
	v_fma_f64 v[22:23], v[40:41], s[6:7], -v[32:33]
	v_fma_f64 v[26:27], v[46:47], s[2:3], -v[36:37]
	v_fma_f64 v[28:29], v[44:45], s[12:13], v[38:39]
	v_fma_f64 v[36:37], v[50:51], s[12:13], v[34:35]
	;; [unrolled: 1-line block ×6, first 2 shown]
	v_fma_f64 v[46:47], v[70:71], s[0:1], -v[64:65]
	v_fma_f64 v[50:51], v[68:69], s[4:5], -v[66:67]
	v_add_f64_e64 v[2:3], v[6:7], -v[10:11]
	v_add_f64_e64 v[0:1], v[4:5], -v[8:9]
	v_add_f64_e32 v[6:7], v[6:7], v[10:11]
	v_add_f64_e32 v[4:5], v[4:5], v[8:9]
	v_add_f64_e64 v[10:11], v[12:13], -v[22:23]
	v_add_f64_e64 v[14:15], v[24:25], -v[26:27]
	;; [unrolled: 1-line block ×3, first 2 shown]
	v_add_f64_e32 v[30:31], v[74:75], v[28:29]
	v_add_f64_e32 v[34:35], v[48:49], v[38:39]
	;; [unrolled: 1-line block ×8, first 2 shown]
	v_add_f64_e64 v[38:39], v[48:49], -v[38:39]
	v_add_f64_e64 v[36:37], v[36:37], -v[42:43]
	;; [unrolled: 1-line block ×5, first 2 shown]
	ds_store_b128 v184, v[4:7]
	ds_store_b128 v184, v[32:35] offset:1056
	ds_store_b128 v184, v[28:31] offset:2112
	ds_store_b128 v184, v[24:27] offset:3168
	ds_store_b128 v184, v[20:23] offset:4224
	ds_store_b128 v184, v[0:3] offset:5280
	ds_store_b128 v184, v[36:39] offset:6336
	ds_store_b128 v184, v[16:19] offset:7392
	ds_store_b128 v184, v[12:15] offset:8448
	ds_store_b128 v184, v[8:11] offset:9504
.LBB0_23:
	s_wait_alu 0xfffe
	s_or_b32 exec_lo, exec_lo, s10
	global_wb scope:SCOPE_SE
	s_wait_dscnt 0x0
	s_barrier_signal -1
	s_barrier_wait -1
	global_inv scope:SCOPE_SE
	s_and_saveexec_b32 s0, vcc_lo
	s_cbranch_execz .LBB0_25
; %bb.24:
	v_dual_mov_b32 v61, 0 :: v_dual_add_nc_u32 v2, 0x6e, v60
	v_add_co_u32 v36, vcc_lo, s8, v62
	s_wait_alu 0xfffd
	v_add_co_ci_u32_e32 v37, vcc_lo, s9, v63, vcc_lo
	s_delay_alu instid0(VALU_DEP_3) | instskip(SKIP_2) | instid1(VALU_DEP_3)
	v_dual_mov_b32 v3, v61 :: v_dual_add_nc_u32 v10, 0xdc, v60
	v_lshlrev_b64_e32 v[0:1], 4, v[60:61]
	v_dual_mov_b32 v11, v61 :: v_dual_add_nc_u32 v16, 0x14a, v60
	v_lshlrev_b64_e32 v[8:9], 4, v[2:3]
	v_lshl_add_u32 v20, v60, 4, 0
	v_dual_mov_b32 v17, v61 :: v_dual_add_nc_u32 v18, 0x1b8, v60
	v_add_co_u32 v24, vcc_lo, v36, v0
	s_wait_alu 0xfffd
	v_add_co_ci_u32_e32 v25, vcc_lo, v37, v1, vcc_lo
	v_add_co_u32 v26, vcc_lo, v36, v8
	s_wait_alu 0xfffd
	v_add_co_ci_u32_e32 v27, vcc_lo, v37, v9, vcc_lo
	v_lshlrev_b64_e32 v[8:9], 4, v[10:11]
	v_dual_mov_b32 v19, v61 :: v_dual_add_nc_u32 v60, 0x226, v60
	ds_load_b128 v[0:3], v20
	ds_load_b128 v[4:7], v20 offset:1760
	v_lshlrev_b64_e32 v[30:31], 4, v[16:17]
	v_add_co_u32 v28, vcc_lo, v36, v8
	s_wait_alu 0xfffd
	v_add_co_ci_u32_e32 v29, vcc_lo, v37, v9, vcc_lo
	ds_load_b128 v[8:11], v20 offset:3520
	ds_load_b128 v[12:15], v20 offset:5280
	v_lshlrev_b64_e32 v[32:33], 4, v[18:19]
	ds_load_b128 v[16:19], v20 offset:7040
	ds_load_b128 v[20:23], v20 offset:8800
	v_add_co_u32 v30, vcc_lo, v36, v30
	v_lshlrev_b64_e32 v[34:35], 4, v[60:61]
	s_wait_alu 0xfffd
	v_add_co_ci_u32_e32 v31, vcc_lo, v37, v31, vcc_lo
	v_add_co_u32 v32, vcc_lo, v36, v32
	s_wait_alu 0xfffd
	v_add_co_ci_u32_e32 v33, vcc_lo, v37, v33, vcc_lo
	v_add_co_u32 v34, vcc_lo, v36, v34
	s_wait_alu 0xfffd
	v_add_co_ci_u32_e32 v35, vcc_lo, v37, v35, vcc_lo
	s_wait_dscnt 0x5
	global_store_b128 v[24:25], v[0:3], off
	s_wait_dscnt 0x4
	global_store_b128 v[26:27], v[4:7], off
	;; [unrolled: 2-line block ×6, first 2 shown]
.LBB0_25:
	s_nop 0
	s_sendmsg sendmsg(MSG_DEALLOC_VGPRS)
	s_endpgm
	.section	.rodata,"a",@progbits
	.p2align	6, 0x0
	.amdhsa_kernel fft_rtc_fwd_len660_factors_11_6_10_wgs_110_tpt_110_halfLds_dp_ip_CI_unitstride_sbrr_C2R_dirReg
		.amdhsa_group_segment_fixed_size 0
		.amdhsa_private_segment_fixed_size 0
		.amdhsa_kernarg_size 88
		.amdhsa_user_sgpr_count 2
		.amdhsa_user_sgpr_dispatch_ptr 0
		.amdhsa_user_sgpr_queue_ptr 0
		.amdhsa_user_sgpr_kernarg_segment_ptr 1
		.amdhsa_user_sgpr_dispatch_id 0
		.amdhsa_user_sgpr_private_segment_size 0
		.amdhsa_wavefront_size32 1
		.amdhsa_uses_dynamic_stack 0
		.amdhsa_enable_private_segment 0
		.amdhsa_system_sgpr_workgroup_id_x 1
		.amdhsa_system_sgpr_workgroup_id_y 0
		.amdhsa_system_sgpr_workgroup_id_z 0
		.amdhsa_system_sgpr_workgroup_info 0
		.amdhsa_system_vgpr_workitem_id 0
		.amdhsa_next_free_vgpr 195
		.amdhsa_next_free_sgpr 36
		.amdhsa_reserve_vcc 1
		.amdhsa_float_round_mode_32 0
		.amdhsa_float_round_mode_16_64 0
		.amdhsa_float_denorm_mode_32 3
		.amdhsa_float_denorm_mode_16_64 3
		.amdhsa_fp16_overflow 0
		.amdhsa_workgroup_processor_mode 1
		.amdhsa_memory_ordered 1
		.amdhsa_forward_progress 0
		.amdhsa_round_robin_scheduling 0
		.amdhsa_exception_fp_ieee_invalid_op 0
		.amdhsa_exception_fp_denorm_src 0
		.amdhsa_exception_fp_ieee_div_zero 0
		.amdhsa_exception_fp_ieee_overflow 0
		.amdhsa_exception_fp_ieee_underflow 0
		.amdhsa_exception_fp_ieee_inexact 0
		.amdhsa_exception_int_div_zero 0
	.end_amdhsa_kernel
	.text
.Lfunc_end0:
	.size	fft_rtc_fwd_len660_factors_11_6_10_wgs_110_tpt_110_halfLds_dp_ip_CI_unitstride_sbrr_C2R_dirReg, .Lfunc_end0-fft_rtc_fwd_len660_factors_11_6_10_wgs_110_tpt_110_halfLds_dp_ip_CI_unitstride_sbrr_C2R_dirReg
                                        ; -- End function
	.section	.AMDGPU.csdata,"",@progbits
; Kernel info:
; codeLenInByte = 7536
; NumSgprs: 38
; NumVgprs: 195
; ScratchSize: 0
; MemoryBound: 0
; FloatMode: 240
; IeeeMode: 1
; LDSByteSize: 0 bytes/workgroup (compile time only)
; SGPRBlocks: 4
; VGPRBlocks: 24
; NumSGPRsForWavesPerEU: 38
; NumVGPRsForWavesPerEU: 195
; Occupancy: 7
; WaveLimiterHint : 1
; COMPUTE_PGM_RSRC2:SCRATCH_EN: 0
; COMPUTE_PGM_RSRC2:USER_SGPR: 2
; COMPUTE_PGM_RSRC2:TRAP_HANDLER: 0
; COMPUTE_PGM_RSRC2:TGID_X_EN: 1
; COMPUTE_PGM_RSRC2:TGID_Y_EN: 0
; COMPUTE_PGM_RSRC2:TGID_Z_EN: 0
; COMPUTE_PGM_RSRC2:TIDIG_COMP_CNT: 0
	.text
	.p2alignl 7, 3214868480
	.fill 96, 4, 3214868480
	.type	__hip_cuid_5beefcbe8beca04f,@object ; @__hip_cuid_5beefcbe8beca04f
	.section	.bss,"aw",@nobits
	.globl	__hip_cuid_5beefcbe8beca04f
__hip_cuid_5beefcbe8beca04f:
	.byte	0                               ; 0x0
	.size	__hip_cuid_5beefcbe8beca04f, 1

	.ident	"AMD clang version 19.0.0git (https://github.com/RadeonOpenCompute/llvm-project roc-6.4.0 25133 c7fe45cf4b819c5991fe208aaa96edf142730f1d)"
	.section	".note.GNU-stack","",@progbits
	.addrsig
	.addrsig_sym __hip_cuid_5beefcbe8beca04f
	.amdgpu_metadata
---
amdhsa.kernels:
  - .args:
      - .actual_access:  read_only
        .address_space:  global
        .offset:         0
        .size:           8
        .value_kind:     global_buffer
      - .offset:         8
        .size:           8
        .value_kind:     by_value
      - .actual_access:  read_only
        .address_space:  global
        .offset:         16
        .size:           8
        .value_kind:     global_buffer
      - .actual_access:  read_only
        .address_space:  global
        .offset:         24
        .size:           8
        .value_kind:     global_buffer
      - .offset:         32
        .size:           8
        .value_kind:     by_value
      - .actual_access:  read_only
        .address_space:  global
        .offset:         40
        .size:           8
        .value_kind:     global_buffer
      - .actual_access:  read_only
        .address_space:  global
        .offset:         48
        .size:           8
        .value_kind:     global_buffer
      - .offset:         56
        .size:           4
        .value_kind:     by_value
      - .actual_access:  read_only
        .address_space:  global
        .offset:         64
        .size:           8
        .value_kind:     global_buffer
      - .actual_access:  read_only
        .address_space:  global
        .offset:         72
        .size:           8
        .value_kind:     global_buffer
      - .address_space:  global
        .offset:         80
        .size:           8
        .value_kind:     global_buffer
    .group_segment_fixed_size: 0
    .kernarg_segment_align: 8
    .kernarg_segment_size: 88
    .language:       OpenCL C
    .language_version:
      - 2
      - 0
    .max_flat_workgroup_size: 110
    .name:           fft_rtc_fwd_len660_factors_11_6_10_wgs_110_tpt_110_halfLds_dp_ip_CI_unitstride_sbrr_C2R_dirReg
    .private_segment_fixed_size: 0
    .sgpr_count:     38
    .sgpr_spill_count: 0
    .symbol:         fft_rtc_fwd_len660_factors_11_6_10_wgs_110_tpt_110_halfLds_dp_ip_CI_unitstride_sbrr_C2R_dirReg.kd
    .uniform_work_group_size: 1
    .uses_dynamic_stack: false
    .vgpr_count:     195
    .vgpr_spill_count: 0
    .wavefront_size: 32
    .workgroup_processor_mode: 1
amdhsa.target:   amdgcn-amd-amdhsa--gfx1201
amdhsa.version:
  - 1
  - 2
...

	.end_amdgpu_metadata
